;; amdgpu-corpus repo=ROCm/bitsandbytes kind=harvested arch=n/a opt=n/a
	.text
	.amdgcn_target "amdgcn-amd-amdhsa--gfx942"
	.amdhsa_code_object_version 6
	.protected	_Z21kOptimizer32bit1StateIfLi2EEvPT_S1_PfS2_ffffffiffbi ; -- Begin function _Z21kOptimizer32bit1StateIfLi2EEvPT_S1_PfS2_ffffffiffbi
	.globl	_Z21kOptimizer32bit1StateIfLi2EEvPT_S1_PfS2_ffffffiffbi
	.p2align	8
	.type	_Z21kOptimizer32bit1StateIfLi2EEvPT_S1_PfS2_ffffffiffbi,@function
_Z21kOptimizer32bit1StateIfLi2EEvPT_S1_PfS2_ffffffiffbi: ; @_Z21kOptimizer32bit1StateIfLi2EEvPT_S1_PfS2_ffffffiffbi
; %bb.0:
	s_load_dwordx4 s[16:19], s[0:1], 0x20
	s_load_dwordx8 s[8:15], s[0:1], 0x0
	s_load_dwordx2 s[24:25], s[0:1], 0x30
	s_load_dword s3, s[0:1], 0x5c
	v_mov_b32_e32 v22, 1.0
	s_waitcnt lgkmcnt(0)
	v_cmp_ngt_f32_e64 s[4:5], s16, 0
	s_and_b64 vcc, exec, s[4:5]
	s_cbranch_vccnz .LBB54_3
; %bb.1:
	s_load_dword s4, s[14:15], 0x0
	v_mov_b32_e32 v1, 0xf800000
	v_mov_b32_e32 v2, 0x4f800000
	v_mov_b32_e32 v22, 1.0
	s_waitcnt lgkmcnt(0)
	v_mul_f32_e32 v2, s4, v2
	v_mov_b32_e32 v3, s4
	v_cmp_lt_f32_e32 vcc, s4, v1
	s_nop 1
	v_cndmask_b32_e32 v1, v3, v2, vcc
	v_sqrt_f32_e32 v2, v1
	s_nop 0
	v_add_u32_e32 v3, -1, v2
	v_add_u32_e32 v4, 1, v2
	v_fma_f32 v5, -v3, v2, v1
	v_fma_f32 v6, -v4, v2, v1
	v_cmp_ge_f32_e64 s[4:5], 0, v5
	s_nop 1
	v_cndmask_b32_e64 v2, v2, v3, s[4:5]
	v_cmp_lt_f32_e64 s[4:5], 0, v6
	s_nop 1
	v_cndmask_b32_e64 v2, v2, v4, s[4:5]
	v_mul_f32_e32 v3, 0x37800000, v2
	v_cndmask_b32_e32 v2, v2, v3, vcc
	v_mov_b32_e32 v3, 0x260
	v_cmp_class_f32_e32 vcc, v1, v3
	v_mov_b32_e32 v3, s17
	s_nop 0
	v_cndmask_b32_e32 v1, v2, v1, vcc
	v_mov_b32_e32 v2, s24
	v_fma_f32 v2, s16, v3, v2
	v_cmp_ngt_f32_e32 vcc, v1, v2
	s_cbranch_vccnz .LBB54_3
; %bb.2:
	v_div_scale_f32 v3, s[4:5], v1, v1, v2
	v_rcp_f32_e32 v4, v3
	v_div_scale_f32 v5, vcc, v2, v1, v2
	v_fma_f32 v6, -v3, v4, 1.0
	v_fmac_f32_e32 v4, v6, v4
	v_mul_f32_e32 v6, v5, v4
	v_fma_f32 v7, -v3, v6, v5
	v_fmac_f32_e32 v6, v7, v4
	v_fma_f32 v3, -v3, v6, v5
	v_div_fmas_f32 v3, v3, v4, v6
	v_div_fixup_f32 v22, v3, v1, v2
.LBB54_3:
	s_load_dwordx4 s[20:23], s[0:1], 0x3c
	s_waitcnt lgkmcnt(0)
	s_ashr_i32 s4, s23, 31
	s_lshr_b32 s4, s4, 20
	s_add_i32 s4, s23, s4
	s_and_b32 s5, s23, 0xfff
	s_and_b32 s6, s4, 0xfffff000
	s_cmp_lg_u32 s5, 0
	s_cselect_b64 s[4:5], -1, 0
	v_cndmask_b32_e64 v1, 0, 1, s[4:5]
	s_and_b32 s3, 0xffff, s3
	v_readfirstlane_b32 s4, v1
	s_mul_i32 s2, s2, s3
	s_lshl_b32 s19, s4, 12
	s_add_i32 s19, s19, s6
	s_lshl_b32 s14, s2, 2
	s_cmp_ge_u32 s14, s19
	s_cbranch_scc1 .LBB54_54
; %bb.4:
	v_mbcnt_lo_u32_b32 v1, -1, 0
	v_mbcnt_hi_u32_b32 v1, -1, v1
	v_lshlrev_b32_e32 v2, 2, v0
	v_and_b32_e32 v8, 0xf00, v2
	v_lshlrev_b32_e32 v2, 2, v1
	v_mov_b32_e32 v3, 0
	s_load_dword s4, s[0:1], 0x50
	v_lshl_add_u64 v[4:5], s[8:9], 0, v[2:3]
	v_lshlrev_b32_e32 v6, 2, v8
	v_mov_b32_e32 v7, v3
	v_or_b32_e32 v23, v1, v8
	v_and_b32_e32 v0, 0x3c0, v0
	v_lshl_add_u64 v[12:13], v[4:5], 0, v[6:7]
	v_add_u32_e32 v24, 64, v23
	v_lshrrev_b32_e32 v4, 5, v23
	v_add_u32_e32 v0, v1, v0
	v_or_b32_e32 v25, 0x80, v23
	v_add_lshl_u32 v27, v4, v23, 2
	v_lshrrev_b32_e32 v4, 5, v24
	v_lshlrev_b32_e32 v1, 2, v0
	v_bfe_u32 v0, v0, 3, 27
	s_bitcmp1_b32 s22, 0
	v_add_u32_e32 v26, 0xc0, v23
	v_add_lshl_u32 v28, v4, v24, 2
	v_lshrrev_b32_e32 v4, 5, v25
	v_add_lshl_u32 v31, v0, v1, 2
	v_lshl_add_u64 v[0:1], s[12:13], 0, v[2:3]
	s_cselect_b64 s[2:3], -1, 0
	v_add_lshl_u32 v29, v4, v25, 2
	v_lshrrev_b32_e32 v4, 5, v26
	v_lshl_add_u64 v[14:15], v[0:1], 0, v[6:7]
	v_lshl_add_u64 v[0:1], s[10:11], 0, v[2:3]
	s_mov_b32 s15, 0
	v_add_lshl_u32 v30, v4, v26, 2
	v_lshl_add_u64 v[16:17], v[0:1], 0, v[6:7]
	v_cmp_gt_f32_e64 s[0:1], s25, 0
	v_sub_f32_e64 v32, 1.0, s18
	s_waitcnt lgkmcnt(0)
	s_lshl_b32 s22, s4, 12
	s_sub_i32 s23, s23, s14
	s_xor_b64 s[12:13], s[2:3], -1
	s_mov_b32 s26, 0xf800000
	v_mov_b32_e32 v33, 0x260
                                        ; implicit-def: $vgpr4_vgpr5_vgpr6_vgpr7
                                        ; implicit-def: $vgpr8_vgpr9_vgpr10_vgpr11
                                        ; implicit-def: $vgpr0_vgpr1_vgpr2_vgpr3
	s_branch .LBB54_6
.LBB54_5:                               ;   in Loop: Header=BB54_6 Depth=1
	s_or_b64 exec, exec, s[2:3]
	s_add_i32 s14, s14, s22
	s_sub_i32 s23, s23, s22
	s_cmp_ge_u32 s14, s19
	s_cbranch_scc1 .LBB54_54
.LBB54_6:                               ; =>This Inner Loop Header: Depth=1
	s_min_u32 s10, s23, 0x1000
	v_lshl_add_u64 v[18:19], s[14:15], 2, v[12:13]
	v_cmp_gt_u32_e64 s[2:3], s10, v23
	s_barrier
	s_and_saveexec_b64 s[4:5], s[2:3]
	s_cbranch_execnz .LBB54_38
; %bb.7:                                ;   in Loop: Header=BB54_6 Depth=1
	s_or_b64 exec, exec, s[4:5]
	v_cmp_gt_u32_e64 s[4:5], s10, v24
	s_and_saveexec_b64 s[6:7], s[4:5]
	s_cbranch_execnz .LBB54_39
.LBB54_8:                               ;   in Loop: Header=BB54_6 Depth=1
	s_or_b64 exec, exec, s[6:7]
	v_cmp_gt_u32_e64 s[6:7], s10, v25
	s_and_saveexec_b64 s[8:9], s[6:7]
	s_cbranch_execnz .LBB54_40
.LBB54_9:                               ;   in Loop: Header=BB54_6 Depth=1
	s_or_b64 exec, exec, s[8:9]
	v_cmp_gt_u32_e64 s[8:9], s10, v26
	s_and_saveexec_b64 s[10:11], s[8:9]
	s_cbranch_execz .LBB54_11
.LBB54_10:                              ;   in Loop: Header=BB54_6 Depth=1
	global_load_dword v3, v[18:19], off offset:768
.LBB54_11:                              ;   in Loop: Header=BB54_6 Depth=1
	s_or_b64 exec, exec, s[10:11]
	s_waitcnt vmcnt(0)
	ds_write_b32 v27, v0
	ds_write_b32 v28, v1
	;; [unrolled: 1-line block ×4, first 2 shown]
	; wave barrier
	ds_read2_b32 v[0:1], v31 offset1:1
	ds_read2_b32 v[2:3], v31 offset0:2 offset1:3
	v_lshl_add_u64 v[18:19], s[14:15], 2, v[14:15]
	s_waitcnt lgkmcnt(0)
	s_barrier
	s_and_saveexec_b64 s[10:11], s[2:3]
	s_cbranch_execnz .LBB54_41
; %bb.12:                               ;   in Loop: Header=BB54_6 Depth=1
	s_or_b64 exec, exec, s[10:11]
	s_and_saveexec_b64 s[10:11], s[4:5]
	s_cbranch_execnz .LBB54_42
.LBB54_13:                              ;   in Loop: Header=BB54_6 Depth=1
	s_or_b64 exec, exec, s[10:11]
	s_and_saveexec_b64 s[10:11], s[6:7]
	s_cbranch_execnz .LBB54_43
.LBB54_14:                              ;   in Loop: Header=BB54_6 Depth=1
	s_or_b64 exec, exec, s[10:11]
	s_and_saveexec_b64 s[10:11], s[8:9]
	s_cbranch_execz .LBB54_16
.LBB54_15:                              ;   in Loop: Header=BB54_6 Depth=1
	global_load_dword v11, v[18:19], off offset:768
.LBB54_16:                              ;   in Loop: Header=BB54_6 Depth=1
	s_or_b64 exec, exec, s[10:11]
	s_waitcnt vmcnt(0)
	ds_write_b32 v27, v8
	ds_write_b32 v28, v9
	;; [unrolled: 1-line block ×4, first 2 shown]
	; wave barrier
	ds_read2_b32 v[10:11], v31 offset1:1
	ds_read2_b32 v[8:9], v31 offset0:2 offset1:3
	v_lshl_add_u64 v[20:21], s[14:15], 2, v[16:17]
	s_waitcnt lgkmcnt(0)
	s_barrier
	s_and_saveexec_b64 s[10:11], s[2:3]
	s_cbranch_execnz .LBB54_44
; %bb.17:                               ;   in Loop: Header=BB54_6 Depth=1
	s_or_b64 exec, exec, s[10:11]
	s_and_saveexec_b64 s[10:11], s[4:5]
	s_cbranch_execnz .LBB54_45
.LBB54_18:                              ;   in Loop: Header=BB54_6 Depth=1
	s_or_b64 exec, exec, s[10:11]
	s_and_saveexec_b64 s[10:11], s[6:7]
	s_cbranch_execnz .LBB54_46
.LBB54_19:                              ;   in Loop: Header=BB54_6 Depth=1
	s_or_b64 exec, exec, s[10:11]
	s_and_saveexec_b64 s[10:11], s[8:9]
	s_cbranch_execz .LBB54_21
.LBB54_20:                              ;   in Loop: Header=BB54_6 Depth=1
	global_load_dword v7, v[20:21], off offset:768
.LBB54_21:                              ;   in Loop: Header=BB54_6 Depth=1
	s_or_b64 exec, exec, s[10:11]
	s_waitcnt vmcnt(0)
	ds_write_b32 v27, v4
	ds_write_b32 v28, v5
	;; [unrolled: 1-line block ×4, first 2 shown]
	; wave barrier
	ds_read2_b32 v[4:5], v31 offset1:1
	ds_read2_b32 v[6:7], v31 offset0:2 offset1:3
	v_mul_f32_e32 v0, s21, v0
	s_waitcnt lgkmcnt(1)
	v_fma_f32 v34, s25, v4, v0
	v_cndmask_b32_e64 v0, v0, v34, s[0:1]
	v_cmp_neq_f32_e32 vcc, 0, v0
	s_or_b64 s[10:11], s[12:13], vcc
	s_and_saveexec_b64 s[16:17], s[10:11]
	s_cbranch_execz .LBB54_23
; %bb.22:                               ;   in Loop: Header=BB54_6 Depth=1
	v_mul_f32_e32 v34, v32, v0
	v_mul_f32_e32 v34, v0, v34
	v_fmac_f32_e32 v34, s18, v10
	v_mul_f32_e32 v10, 0x4f800000, v34
	v_cmp_gt_f32_e32 vcc, s26, v34
	s_nop 1
	v_cndmask_b32_e32 v10, v34, v10, vcc
	v_sqrt_f32_e32 v35, v10
	s_nop 0
	v_add_u32_e32 v36, -1, v35
	v_fma_f32 v38, -v36, v35, v10
	v_add_u32_e32 v37, 1, v35
	v_cmp_ge_f32_e64 s[10:11], 0, v38
	s_nop 1
	v_cndmask_b32_e64 v36, v35, v36, s[10:11]
	v_fma_f32 v35, -v37, v35, v10
	v_cmp_lt_f32_e64 s[10:11], 0, v35
	s_nop 1
	v_cndmask_b32_e64 v35, v36, v37, s[10:11]
	v_mul_f32_e32 v36, 0x37800000, v35
	v_cndmask_b32_e32 v35, v35, v36, vcc
	v_cmp_class_f32_e32 vcc, v10, v33
	s_nop 1
	v_cndmask_b32_e32 v10, v35, v10, vcc
	v_add_f32_e32 v35, s24, v10
	v_div_scale_f32 v36, s[10:11], v35, v35, v0
	v_rcp_f32_e32 v37, v36
	v_mov_b32_e32 v10, v34
	v_fma_f32 v34, -v36, v37, 1.0
	v_fmac_f32_e32 v37, v34, v37
	v_div_scale_f32 v34, vcc, v0, v35, v0
	v_mul_f32_e32 v38, v34, v37
	v_fma_f32 v39, -v36, v38, v34
	v_fmac_f32_e32 v38, v39, v37
	v_fma_f32 v34, -v36, v38, v34
	v_div_fmas_f32 v34, v34, v37, v38
	v_div_fixup_f32 v34, v34, v35, v0
	v_mul_f32_e32 v34, s20, v34
	v_fma_f32 v4, -v22, v34, v4
.LBB54_23:                              ;   in Loop: Header=BB54_6 Depth=1
	s_or_b64 exec, exec, s[16:17]
	v_mul_f32_e32 v1, s21, v1
	v_fma_f32 v34, s25, v5, v1
	v_mul_f32_e32 v2, s21, v2
	v_cndmask_b32_e64 v1, v1, v34, s[0:1]
	s_waitcnt lgkmcnt(0)
	v_fma_f32 v34, s25, v6, v2
	v_mul_f32_e32 v3, s21, v3
	v_cndmask_b32_e64 v2, v2, v34, s[0:1]
	v_fma_f32 v34, s25, v7, v3
	v_cmp_neq_f32_e32 vcc, 0, v1
	v_cndmask_b32_e64 v3, v3, v34, s[0:1]
	s_or_b64 s[10:11], s[12:13], vcc
	s_and_saveexec_b64 s[16:17], s[10:11]
	s_cbranch_execz .LBB54_25
; %bb.24:                               ;   in Loop: Header=BB54_6 Depth=1
	v_mul_f32_e32 v34, v32, v1
	v_mul_f32_e32 v34, v1, v34
	v_fmac_f32_e32 v34, s18, v11
	v_mul_f32_e32 v11, 0x4f800000, v34
	v_cmp_gt_f32_e32 vcc, s26, v34
	s_nop 1
	v_cndmask_b32_e32 v11, v34, v11, vcc
	v_sqrt_f32_e32 v35, v11
	s_nop 0
	v_add_u32_e32 v36, -1, v35
	v_fma_f32 v38, -v36, v35, v11
	v_add_u32_e32 v37, 1, v35
	v_cmp_ge_f32_e64 s[10:11], 0, v38
	s_nop 1
	v_cndmask_b32_e64 v36, v35, v36, s[10:11]
	v_fma_f32 v35, -v37, v35, v11
	v_cmp_lt_f32_e64 s[10:11], 0, v35
	s_nop 1
	v_cndmask_b32_e64 v35, v36, v37, s[10:11]
	v_mul_f32_e32 v36, 0x37800000, v35
	v_cndmask_b32_e32 v35, v35, v36, vcc
	v_cmp_class_f32_e32 vcc, v11, v33
	s_nop 1
	v_cndmask_b32_e32 v11, v35, v11, vcc
	v_add_f32_e32 v35, s24, v11
	v_div_scale_f32 v36, s[10:11], v35, v35, v1
	v_rcp_f32_e32 v37, v36
	v_mov_b32_e32 v11, v34
	v_fma_f32 v34, -v36, v37, 1.0
	v_fmac_f32_e32 v37, v34, v37
	v_div_scale_f32 v34, vcc, v1, v35, v1
	v_mul_f32_e32 v38, v34, v37
	v_fma_f32 v39, -v36, v38, v34
	v_fmac_f32_e32 v38, v39, v37
	v_fma_f32 v34, -v36, v38, v34
	v_div_fmas_f32 v34, v34, v37, v38
	v_div_fixup_f32 v34, v34, v35, v1
	v_mul_f32_e32 v34, s20, v34
	v_fma_f32 v5, -v22, v34, v5
.LBB54_25:                              ;   in Loop: Header=BB54_6 Depth=1
	s_or_b64 exec, exec, s[16:17]
	v_cmp_neq_f32_e32 vcc, 0, v2
	s_or_b64 s[10:11], s[12:13], vcc
	s_and_saveexec_b64 s[16:17], s[10:11]
	s_cbranch_execz .LBB54_27
; %bb.26:                               ;   in Loop: Header=BB54_6 Depth=1
	v_mul_f32_e32 v34, v32, v2
	v_mul_f32_e32 v34, v2, v34
	v_fmac_f32_e32 v34, s18, v8
	v_mul_f32_e32 v8, 0x4f800000, v34
	v_cmp_gt_f32_e32 vcc, s26, v34
	s_nop 1
	v_cndmask_b32_e32 v8, v34, v8, vcc
	v_sqrt_f32_e32 v35, v8
	s_nop 0
	v_add_u32_e32 v36, -1, v35
	v_fma_f32 v38, -v36, v35, v8
	v_add_u32_e32 v37, 1, v35
	v_cmp_ge_f32_e64 s[10:11], 0, v38
	s_nop 1
	v_cndmask_b32_e64 v36, v35, v36, s[10:11]
	v_fma_f32 v35, -v37, v35, v8
	v_cmp_lt_f32_e64 s[10:11], 0, v35
	s_nop 1
	v_cndmask_b32_e64 v35, v36, v37, s[10:11]
	v_mul_f32_e32 v36, 0x37800000, v35
	v_cndmask_b32_e32 v35, v35, v36, vcc
	v_cmp_class_f32_e32 vcc, v8, v33
	s_nop 1
	v_cndmask_b32_e32 v8, v35, v8, vcc
	v_add_f32_e32 v35, s24, v8
	v_div_scale_f32 v36, s[10:11], v35, v35, v2
	v_rcp_f32_e32 v37, v36
	v_mov_b32_e32 v8, v34
	v_fma_f32 v34, -v36, v37, 1.0
	v_fmac_f32_e32 v37, v34, v37
	v_div_scale_f32 v34, vcc, v2, v35, v2
	v_mul_f32_e32 v38, v34, v37
	v_fma_f32 v39, -v36, v38, v34
	v_fmac_f32_e32 v38, v39, v37
	v_fma_f32 v34, -v36, v38, v34
	v_div_fmas_f32 v34, v34, v37, v38
	v_div_fixup_f32 v34, v34, v35, v2
	v_mul_f32_e32 v34, s20, v34
	v_fma_f32 v6, -v22, v34, v6
.LBB54_27:                              ;   in Loop: Header=BB54_6 Depth=1
	s_or_b64 exec, exec, s[16:17]
	v_cmp_neq_f32_e32 vcc, 0, v3
	s_or_b64 s[10:11], s[12:13], vcc
	s_and_saveexec_b64 s[16:17], s[10:11]
	s_cbranch_execz .LBB54_29
; %bb.28:                               ;   in Loop: Header=BB54_6 Depth=1
	v_mul_f32_e32 v34, v32, v3
	v_mul_f32_e32 v34, v3, v34
	v_fmac_f32_e32 v34, s18, v9
	v_mul_f32_e32 v9, 0x4f800000, v34
	v_cmp_gt_f32_e32 vcc, s26, v34
	s_nop 1
	v_cndmask_b32_e32 v9, v34, v9, vcc
	v_sqrt_f32_e32 v35, v9
	s_nop 0
	v_add_u32_e32 v36, -1, v35
	v_fma_f32 v38, -v36, v35, v9
	v_add_u32_e32 v37, 1, v35
	v_cmp_ge_f32_e64 s[10:11], 0, v38
	s_nop 1
	v_cndmask_b32_e64 v36, v35, v36, s[10:11]
	v_fma_f32 v35, -v37, v35, v9
	v_cmp_lt_f32_e64 s[10:11], 0, v35
	s_nop 1
	v_cndmask_b32_e64 v35, v36, v37, s[10:11]
	v_mul_f32_e32 v36, 0x37800000, v35
	v_cndmask_b32_e32 v35, v35, v36, vcc
	v_cmp_class_f32_e32 vcc, v9, v33
	s_nop 1
	v_cndmask_b32_e32 v9, v35, v9, vcc
	v_add_f32_e32 v35, s24, v9
	v_div_scale_f32 v36, s[10:11], v35, v35, v3
	v_rcp_f32_e32 v37, v36
	v_mov_b32_e32 v9, v34
	v_fma_f32 v34, -v36, v37, 1.0
	v_fmac_f32_e32 v37, v34, v37
	v_div_scale_f32 v34, vcc, v3, v35, v3
	v_mul_f32_e32 v38, v34, v37
	v_fma_f32 v39, -v36, v38, v34
	v_fmac_f32_e32 v38, v39, v37
	v_fma_f32 v34, -v36, v38, v34
	v_div_fmas_f32 v34, v34, v37, v38
	v_div_fixup_f32 v34, v34, v35, v3
	v_mul_f32_e32 v34, s20, v34
	v_fma_f32 v7, -v22, v34, v7
.LBB54_29:                              ;   in Loop: Header=BB54_6 Depth=1
	s_or_b64 exec, exec, s[16:17]
	s_barrier
	ds_write2_b32 v31, v4, v5 offset1:1
	ds_write2_b32 v31, v6, v7 offset0:2 offset1:3
	; wave barrier
	ds_read_b32 v4, v27
	ds_read_b32 v5, v28
	;; [unrolled: 1-line block ×4, first 2 shown]
	s_and_saveexec_b64 s[10:11], s[2:3]
	s_xor_b64 s[10:11], exec, s[10:11]
	s_cbranch_execnz .LBB54_47
; %bb.30:                               ;   in Loop: Header=BB54_6 Depth=1
	s_or_b64 exec, exec, s[10:11]
	s_and_saveexec_b64 s[10:11], s[4:5]
	s_cbranch_execnz .LBB54_48
.LBB54_31:                              ;   in Loop: Header=BB54_6 Depth=1
	s_or_b64 exec, exec, s[10:11]
	s_and_saveexec_b64 s[10:11], s[6:7]
	s_cbranch_execnz .LBB54_49
.LBB54_32:                              ;   in Loop: Header=BB54_6 Depth=1
	s_or_b64 exec, exec, s[10:11]
	s_and_saveexec_b64 s[10:11], s[8:9]
	s_cbranch_execz .LBB54_34
.LBB54_33:                              ;   in Loop: Header=BB54_6 Depth=1
	s_waitcnt lgkmcnt(0)
	global_store_dword v[20:21], v7, off offset:768
.LBB54_34:                              ;   in Loop: Header=BB54_6 Depth=1
	s_or_b64 exec, exec, s[10:11]
	s_waitcnt lgkmcnt(0)
	s_barrier
	ds_write2_b32 v31, v10, v11 offset1:1
	ds_write2_b32 v31, v8, v9 offset0:2 offset1:3
	; wave barrier
	ds_read_b32 v8, v27
	ds_read_b32 v9, v28
	;; [unrolled: 1-line block ×4, first 2 shown]
	s_and_saveexec_b64 s[10:11], s[2:3]
	s_cbranch_execnz .LBB54_50
; %bb.35:                               ;   in Loop: Header=BB54_6 Depth=1
	s_or_b64 exec, exec, s[10:11]
	s_and_saveexec_b64 s[2:3], s[4:5]
	s_cbranch_execnz .LBB54_51
.LBB54_36:                              ;   in Loop: Header=BB54_6 Depth=1
	s_or_b64 exec, exec, s[2:3]
	s_and_saveexec_b64 s[2:3], s[6:7]
	s_cbranch_execnz .LBB54_52
.LBB54_37:                              ;   in Loop: Header=BB54_6 Depth=1
	s_or_b64 exec, exec, s[2:3]
	s_and_saveexec_b64 s[2:3], s[8:9]
	s_cbranch_execz .LBB54_5
	s_branch .LBB54_53
.LBB54_38:                              ;   in Loop: Header=BB54_6 Depth=1
	global_load_dword v0, v[18:19], off
	s_or_b64 exec, exec, s[4:5]
	v_cmp_gt_u32_e64 s[4:5], s10, v24
	s_and_saveexec_b64 s[6:7], s[4:5]
	s_cbranch_execz .LBB54_8
.LBB54_39:                              ;   in Loop: Header=BB54_6 Depth=1
	global_load_dword v1, v[18:19], off offset:256
	s_or_b64 exec, exec, s[6:7]
	v_cmp_gt_u32_e64 s[6:7], s10, v25
	s_and_saveexec_b64 s[8:9], s[6:7]
	s_cbranch_execz .LBB54_9
.LBB54_40:                              ;   in Loop: Header=BB54_6 Depth=1
	global_load_dword v2, v[18:19], off offset:512
	s_or_b64 exec, exec, s[8:9]
	v_cmp_gt_u32_e64 s[8:9], s10, v26
	s_and_saveexec_b64 s[10:11], s[8:9]
	s_cbranch_execnz .LBB54_10
	s_branch .LBB54_11
.LBB54_41:                              ;   in Loop: Header=BB54_6 Depth=1
	global_load_dword v8, v[18:19], off
	s_or_b64 exec, exec, s[10:11]
	s_and_saveexec_b64 s[10:11], s[4:5]
	s_cbranch_execz .LBB54_13
.LBB54_42:                              ;   in Loop: Header=BB54_6 Depth=1
	global_load_dword v9, v[18:19], off offset:256
	s_or_b64 exec, exec, s[10:11]
	s_and_saveexec_b64 s[10:11], s[6:7]
	s_cbranch_execz .LBB54_14
.LBB54_43:                              ;   in Loop: Header=BB54_6 Depth=1
	global_load_dword v10, v[18:19], off offset:512
	s_or_b64 exec, exec, s[10:11]
	s_and_saveexec_b64 s[10:11], s[8:9]
	s_cbranch_execnz .LBB54_15
	s_branch .LBB54_16
.LBB54_44:                              ;   in Loop: Header=BB54_6 Depth=1
	global_load_dword v4, v[20:21], off
	s_or_b64 exec, exec, s[10:11]
	s_and_saveexec_b64 s[10:11], s[4:5]
	s_cbranch_execz .LBB54_18
.LBB54_45:                              ;   in Loop: Header=BB54_6 Depth=1
	global_load_dword v5, v[20:21], off offset:256
	s_or_b64 exec, exec, s[10:11]
	s_and_saveexec_b64 s[10:11], s[6:7]
	s_cbranch_execz .LBB54_19
.LBB54_46:                              ;   in Loop: Header=BB54_6 Depth=1
	global_load_dword v6, v[20:21], off offset:512
	s_or_b64 exec, exec, s[10:11]
	s_and_saveexec_b64 s[10:11], s[8:9]
	s_cbranch_execnz .LBB54_20
	s_branch .LBB54_21
.LBB54_47:                              ;   in Loop: Header=BB54_6 Depth=1
	s_waitcnt lgkmcnt(3)
	global_store_dword v[20:21], v4, off
	s_or_b64 exec, exec, s[10:11]
	s_and_saveexec_b64 s[10:11], s[4:5]
	s_cbranch_execz .LBB54_31
.LBB54_48:                              ;   in Loop: Header=BB54_6 Depth=1
	s_waitcnt lgkmcnt(2)
	global_store_dword v[20:21], v5, off offset:256
	s_or_b64 exec, exec, s[10:11]
	s_and_saveexec_b64 s[10:11], s[6:7]
	s_cbranch_execz .LBB54_32
.LBB54_49:                              ;   in Loop: Header=BB54_6 Depth=1
	s_waitcnt lgkmcnt(1)
	global_store_dword v[20:21], v6, off offset:512
	s_or_b64 exec, exec, s[10:11]
	s_and_saveexec_b64 s[10:11], s[8:9]
	s_cbranch_execnz .LBB54_33
	s_branch .LBB54_34
.LBB54_50:                              ;   in Loop: Header=BB54_6 Depth=1
	s_waitcnt lgkmcnt(3)
	global_store_dword v[18:19], v8, off
	s_or_b64 exec, exec, s[10:11]
	s_and_saveexec_b64 s[2:3], s[4:5]
	s_cbranch_execz .LBB54_36
.LBB54_51:                              ;   in Loop: Header=BB54_6 Depth=1
	s_waitcnt lgkmcnt(2)
	global_store_dword v[18:19], v9, off offset:256
	s_or_b64 exec, exec, s[2:3]
	s_and_saveexec_b64 s[2:3], s[6:7]
	s_cbranch_execz .LBB54_37
.LBB54_52:                              ;   in Loop: Header=BB54_6 Depth=1
	s_waitcnt lgkmcnt(1)
	global_store_dword v[18:19], v10, off offset:512
	s_or_b64 exec, exec, s[2:3]
	s_and_saveexec_b64 s[2:3], s[8:9]
	s_cbranch_execz .LBB54_5
.LBB54_53:                              ;   in Loop: Header=BB54_6 Depth=1
	s_waitcnt lgkmcnt(0)
	global_store_dword v[18:19], v11, off offset:768
	s_branch .LBB54_5
.LBB54_54:
	s_endpgm
	.section	.rodata,"a",@progbits
	.p2align	6, 0x0
	.amdhsa_kernel _Z21kOptimizer32bit1StateIfLi2EEvPT_S1_PfS2_ffffffiffbi
		.amdhsa_group_segment_fixed_size 16896
		.amdhsa_private_segment_fixed_size 0
		.amdhsa_kernarg_size 336
		.amdhsa_user_sgpr_count 2
		.amdhsa_user_sgpr_dispatch_ptr 0
		.amdhsa_user_sgpr_queue_ptr 0
		.amdhsa_user_sgpr_kernarg_segment_ptr 1
		.amdhsa_user_sgpr_dispatch_id 0
		.amdhsa_user_sgpr_kernarg_preload_length 0
		.amdhsa_user_sgpr_kernarg_preload_offset 0
		.amdhsa_user_sgpr_private_segment_size 0
		.amdhsa_uses_dynamic_stack 0
		.amdhsa_enable_private_segment 0
		.amdhsa_system_sgpr_workgroup_id_x 1
		.amdhsa_system_sgpr_workgroup_id_y 0
		.amdhsa_system_sgpr_workgroup_id_z 0
		.amdhsa_system_sgpr_workgroup_info 0
		.amdhsa_system_vgpr_workitem_id 0
		.amdhsa_next_free_vgpr 40
		.amdhsa_next_free_sgpr 27
		.amdhsa_accum_offset 40
		.amdhsa_reserve_vcc 1
		.amdhsa_float_round_mode_32 0
		.amdhsa_float_round_mode_16_64 0
		.amdhsa_float_denorm_mode_32 3
		.amdhsa_float_denorm_mode_16_64 3
		.amdhsa_dx10_clamp 1
		.amdhsa_ieee_mode 1
		.amdhsa_fp16_overflow 0
		.amdhsa_tg_split 0
		.amdhsa_exception_fp_ieee_invalid_op 0
		.amdhsa_exception_fp_denorm_src 0
		.amdhsa_exception_fp_ieee_div_zero 0
		.amdhsa_exception_fp_ieee_overflow 0
		.amdhsa_exception_fp_ieee_underflow 0
		.amdhsa_exception_fp_ieee_inexact 0
		.amdhsa_exception_int_div_zero 0
	.end_amdhsa_kernel
	.section	.text._Z21kOptimizer32bit1StateIfLi2EEvPT_S1_PfS2_ffffffiffbi,"axG",@progbits,_Z21kOptimizer32bit1StateIfLi2EEvPT_S1_PfS2_ffffffiffbi,comdat
.Lfunc_end54:
	.size	_Z21kOptimizer32bit1StateIfLi2EEvPT_S1_PfS2_ffffffiffbi, .Lfunc_end54-_Z21kOptimizer32bit1StateIfLi2EEvPT_S1_PfS2_ffffffiffbi
                                        ; -- End function
	.section	.AMDGPU.csdata,"",@progbits
; Kernel info:
; codeLenInByte = 2748
; NumSgprs: 33
; NumVgprs: 40
; NumAgprs: 0
; TotalNumVgprs: 40
; ScratchSize: 0
; MemoryBound: 0
; FloatMode: 240
; IeeeMode: 1
; LDSByteSize: 16896 bytes/workgroup (compile time only)
; SGPRBlocks: 4
; VGPRBlocks: 4
; NumSGPRsForWavesPerEU: 33
; NumVGPRsForWavesPerEU: 40
; AccumOffset: 40
; Occupancy: 8
; WaveLimiterHint : 0
; COMPUTE_PGM_RSRC2:SCRATCH_EN: 0
; COMPUTE_PGM_RSRC2:USER_SGPR: 2
; COMPUTE_PGM_RSRC2:TRAP_HANDLER: 0
; COMPUTE_PGM_RSRC2:TGID_X_EN: 1
; COMPUTE_PGM_RSRC2:TGID_Y_EN: 0
; COMPUTE_PGM_RSRC2:TGID_Z_EN: 0
; COMPUTE_PGM_RSRC2:TIDIG_COMP_CNT: 0
; COMPUTE_PGM_RSRC3_GFX90A:ACCUM_OFFSET: 9
; COMPUTE_PGM_RSRC3_GFX90A:TG_SPLIT: 0
	.section	.text._Z21kOptimizer32bit1StateI12hip_bfloat16Li2EEvPT_S2_PfS3_ffffffiffbi,"axG",@progbits,_Z21kOptimizer32bit1StateI12hip_bfloat16Li2EEvPT_S2_PfS3_ffffffiffbi,comdat
